;; amdgpu-corpus repo=ROCm/rocFFT kind=compiled arch=gfx1030 opt=O3
	.text
	.amdgcn_target "amdgcn-amd-amdhsa--gfx1030"
	.amdhsa_code_object_version 6
	.protected	fft_rtc_fwd_len704_factors_2_2_2_2_11_2_2_wgs_176_tpt_88_halfLds_half_ip_CI_unitstride_sbrr_dirReg ; -- Begin function fft_rtc_fwd_len704_factors_2_2_2_2_11_2_2_wgs_176_tpt_88_halfLds_half_ip_CI_unitstride_sbrr_dirReg
	.globl	fft_rtc_fwd_len704_factors_2_2_2_2_11_2_2_wgs_176_tpt_88_halfLds_half_ip_CI_unitstride_sbrr_dirReg
	.p2align	8
	.type	fft_rtc_fwd_len704_factors_2_2_2_2_11_2_2_wgs_176_tpt_88_halfLds_half_ip_CI_unitstride_sbrr_dirReg,@function
fft_rtc_fwd_len704_factors_2_2_2_2_11_2_2_wgs_176_tpt_88_halfLds_half_ip_CI_unitstride_sbrr_dirReg: ; @fft_rtc_fwd_len704_factors_2_2_2_2_11_2_2_wgs_176_tpt_88_halfLds_half_ip_CI_unitstride_sbrr_dirReg
; %bb.0:
	s_clause 0x2
	s_load_dwordx4 s[8:11], s[4:5], 0x0
	s_load_dwordx2 s[2:3], s[4:5], 0x50
	s_load_dwordx2 s[12:13], s[4:5], 0x18
	v_mul_u32_u24_e32 v1, 0x2e9, v0
	v_mov_b32_e32 v3, 0
	v_lshrrev_b32_e32 v9, 16, v1
	v_mov_b32_e32 v1, 0
	v_mov_b32_e32 v6, v3
	v_mov_b32_e32 v2, 0
	v_lshl_add_u32 v5, s6, 1, v9
	s_waitcnt lgkmcnt(0)
	v_cmp_lt_u64_e64 s0, s[10:11], 2
	s_and_b32 vcc_lo, exec_lo, s0
	s_cbranch_vccnz .LBB0_8
; %bb.1:
	s_load_dwordx2 s[0:1], s[4:5], 0x10
	v_mov_b32_e32 v1, 0
	s_add_u32 s6, s12, 8
	v_mov_b32_e32 v2, 0
	s_addc_u32 s7, s13, 0
	s_mov_b64 s[16:17], 1
	s_waitcnt lgkmcnt(0)
	s_add_u32 s14, s0, 8
	s_addc_u32 s15, s1, 0
.LBB0_2:                                ; =>This Inner Loop Header: Depth=1
	s_load_dwordx2 s[18:19], s[14:15], 0x0
                                        ; implicit-def: $vgpr7_vgpr8
	s_mov_b32 s0, exec_lo
	s_waitcnt lgkmcnt(0)
	v_or_b32_e32 v4, s19, v6
	v_cmpx_ne_u64_e32 0, v[3:4]
	s_xor_b32 s1, exec_lo, s0
	s_cbranch_execz .LBB0_4
; %bb.3:                                ;   in Loop: Header=BB0_2 Depth=1
	v_cvt_f32_u32_e32 v4, s18
	v_cvt_f32_u32_e32 v7, s19
	s_sub_u32 s0, 0, s18
	s_subb_u32 s20, 0, s19
	v_fmac_f32_e32 v4, 0x4f800000, v7
	v_rcp_f32_e32 v4, v4
	v_mul_f32_e32 v4, 0x5f7ffffc, v4
	v_mul_f32_e32 v7, 0x2f800000, v4
	v_trunc_f32_e32 v7, v7
	v_fmac_f32_e32 v4, 0xcf800000, v7
	v_cvt_u32_f32_e32 v7, v7
	v_cvt_u32_f32_e32 v4, v4
	v_mul_lo_u32 v8, s0, v7
	v_mul_hi_u32 v10, s0, v4
	v_mul_lo_u32 v11, s20, v4
	v_add_nc_u32_e32 v8, v10, v8
	v_mul_lo_u32 v10, s0, v4
	v_add_nc_u32_e32 v8, v8, v11
	v_mul_hi_u32 v11, v4, v10
	v_mul_lo_u32 v12, v4, v8
	v_mul_hi_u32 v13, v4, v8
	v_mul_hi_u32 v14, v7, v10
	v_mul_lo_u32 v10, v7, v10
	v_mul_hi_u32 v15, v7, v8
	v_mul_lo_u32 v8, v7, v8
	v_add_co_u32 v11, vcc_lo, v11, v12
	v_add_co_ci_u32_e32 v12, vcc_lo, 0, v13, vcc_lo
	v_add_co_u32 v10, vcc_lo, v11, v10
	v_add_co_ci_u32_e32 v10, vcc_lo, v12, v14, vcc_lo
	v_add_co_ci_u32_e32 v11, vcc_lo, 0, v15, vcc_lo
	v_add_co_u32 v8, vcc_lo, v10, v8
	v_add_co_ci_u32_e32 v10, vcc_lo, 0, v11, vcc_lo
	v_add_co_u32 v4, vcc_lo, v4, v8
	v_add_co_ci_u32_e32 v7, vcc_lo, v7, v10, vcc_lo
	v_mul_hi_u32 v8, s0, v4
	v_mul_lo_u32 v11, s20, v4
	v_mul_lo_u32 v10, s0, v7
	v_add_nc_u32_e32 v8, v8, v10
	v_mul_lo_u32 v10, s0, v4
	v_add_nc_u32_e32 v8, v8, v11
	v_mul_hi_u32 v11, v4, v10
	v_mul_lo_u32 v12, v4, v8
	v_mul_hi_u32 v13, v4, v8
	v_mul_hi_u32 v14, v7, v10
	v_mul_lo_u32 v10, v7, v10
	v_mul_hi_u32 v15, v7, v8
	v_mul_lo_u32 v8, v7, v8
	v_add_co_u32 v11, vcc_lo, v11, v12
	v_add_co_ci_u32_e32 v12, vcc_lo, 0, v13, vcc_lo
	v_add_co_u32 v10, vcc_lo, v11, v10
	v_add_co_ci_u32_e32 v10, vcc_lo, v12, v14, vcc_lo
	v_add_co_ci_u32_e32 v11, vcc_lo, 0, v15, vcc_lo
	v_add_co_u32 v8, vcc_lo, v10, v8
	v_add_co_ci_u32_e32 v10, vcc_lo, 0, v11, vcc_lo
	v_add_co_u32 v4, vcc_lo, v4, v8
	v_add_co_ci_u32_e32 v12, vcc_lo, v7, v10, vcc_lo
	v_mul_hi_u32 v14, v5, v4
	v_mad_u64_u32 v[10:11], null, v6, v4, 0
	v_mad_u64_u32 v[7:8], null, v5, v12, 0
	;; [unrolled: 1-line block ×3, first 2 shown]
	v_add_co_u32 v4, vcc_lo, v14, v7
	v_add_co_ci_u32_e32 v7, vcc_lo, 0, v8, vcc_lo
	v_add_co_u32 v4, vcc_lo, v4, v10
	v_add_co_ci_u32_e32 v4, vcc_lo, v7, v11, vcc_lo
	v_add_co_ci_u32_e32 v7, vcc_lo, 0, v13, vcc_lo
	v_add_co_u32 v4, vcc_lo, v4, v12
	v_add_co_ci_u32_e32 v10, vcc_lo, 0, v7, vcc_lo
	v_mul_lo_u32 v11, s19, v4
	v_mad_u64_u32 v[7:8], null, s18, v4, 0
	v_mul_lo_u32 v12, s18, v10
	v_sub_co_u32 v7, vcc_lo, v5, v7
	v_add3_u32 v8, v8, v12, v11
	v_sub_nc_u32_e32 v11, v6, v8
	v_subrev_co_ci_u32_e64 v11, s0, s19, v11, vcc_lo
	v_add_co_u32 v12, s0, v4, 2
	v_add_co_ci_u32_e64 v13, s0, 0, v10, s0
	v_sub_co_u32 v14, s0, v7, s18
	v_sub_co_ci_u32_e32 v8, vcc_lo, v6, v8, vcc_lo
	v_subrev_co_ci_u32_e64 v11, s0, 0, v11, s0
	v_cmp_le_u32_e32 vcc_lo, s18, v14
	v_cmp_eq_u32_e64 s0, s19, v8
	v_cndmask_b32_e64 v14, 0, -1, vcc_lo
	v_cmp_le_u32_e32 vcc_lo, s19, v11
	v_cndmask_b32_e64 v15, 0, -1, vcc_lo
	v_cmp_le_u32_e32 vcc_lo, s18, v7
	;; [unrolled: 2-line block ×3, first 2 shown]
	v_cndmask_b32_e64 v16, 0, -1, vcc_lo
	v_cmp_eq_u32_e32 vcc_lo, s19, v11
	v_cndmask_b32_e64 v7, v16, v7, s0
	v_cndmask_b32_e32 v11, v15, v14, vcc_lo
	v_add_co_u32 v14, vcc_lo, v4, 1
	v_add_co_ci_u32_e32 v15, vcc_lo, 0, v10, vcc_lo
	v_cmp_ne_u32_e32 vcc_lo, 0, v11
	v_cndmask_b32_e32 v8, v15, v13, vcc_lo
	v_cndmask_b32_e32 v11, v14, v12, vcc_lo
	v_cmp_ne_u32_e32 vcc_lo, 0, v7
	v_cndmask_b32_e32 v8, v10, v8, vcc_lo
	v_cndmask_b32_e32 v7, v4, v11, vcc_lo
.LBB0_4:                                ;   in Loop: Header=BB0_2 Depth=1
	s_andn2_saveexec_b32 s0, s1
	s_cbranch_execz .LBB0_6
; %bb.5:                                ;   in Loop: Header=BB0_2 Depth=1
	v_cvt_f32_u32_e32 v4, s18
	s_sub_i32 s1, 0, s18
	v_rcp_iflag_f32_e32 v4, v4
	v_mul_f32_e32 v4, 0x4f7ffffe, v4
	v_cvt_u32_f32_e32 v4, v4
	v_mul_lo_u32 v7, s1, v4
	v_mul_hi_u32 v7, v4, v7
	v_add_nc_u32_e32 v4, v4, v7
	v_mul_hi_u32 v4, v5, v4
	v_mul_lo_u32 v7, v4, s18
	v_add_nc_u32_e32 v8, 1, v4
	v_sub_nc_u32_e32 v7, v5, v7
	v_subrev_nc_u32_e32 v10, s18, v7
	v_cmp_le_u32_e32 vcc_lo, s18, v7
	v_cndmask_b32_e32 v7, v7, v10, vcc_lo
	v_cndmask_b32_e32 v4, v4, v8, vcc_lo
	v_cmp_le_u32_e32 vcc_lo, s18, v7
	v_add_nc_u32_e32 v8, 1, v4
	v_cndmask_b32_e32 v7, v4, v8, vcc_lo
	v_mov_b32_e32 v8, v3
.LBB0_6:                                ;   in Loop: Header=BB0_2 Depth=1
	s_or_b32 exec_lo, exec_lo, s0
	s_load_dwordx2 s[0:1], s[6:7], 0x0
	v_mul_lo_u32 v4, v8, s18
	v_mul_lo_u32 v12, v7, s19
	v_mad_u64_u32 v[10:11], null, v7, s18, 0
	s_add_u32 s16, s16, 1
	s_addc_u32 s17, s17, 0
	s_add_u32 s6, s6, 8
	s_addc_u32 s7, s7, 0
	;; [unrolled: 2-line block ×3, first 2 shown]
	v_add3_u32 v4, v11, v12, v4
	v_sub_co_u32 v5, vcc_lo, v5, v10
	v_sub_co_ci_u32_e32 v4, vcc_lo, v6, v4, vcc_lo
	s_waitcnt lgkmcnt(0)
	v_mul_lo_u32 v6, s1, v5
	v_mul_lo_u32 v4, s0, v4
	v_mad_u64_u32 v[1:2], null, s0, v5, v[1:2]
	v_cmp_ge_u64_e64 s0, s[16:17], s[10:11]
	s_and_b32 vcc_lo, exec_lo, s0
	v_add3_u32 v2, v6, v2, v4
	s_cbranch_vccnz .LBB0_9
; %bb.7:                                ;   in Loop: Header=BB0_2 Depth=1
	v_mov_b32_e32 v5, v7
	v_mov_b32_e32 v6, v8
	s_branch .LBB0_2
.LBB0_8:
	v_mov_b32_e32 v8, v6
	v_mov_b32_e32 v7, v5
.LBB0_9:
	s_lshl_b64 s[0:1], s[10:11], 3
	v_mul_hi_u32 v4, 0x2e8ba2f, v0
	s_add_u32 s0, s12, s0
	s_addc_u32 s1, s13, s1
                                        ; implicit-def: $vgpr15
                                        ; implicit-def: $vgpr13
                                        ; implicit-def: $vgpr14
                                        ; implicit-def: $vgpr12
                                        ; implicit-def: $vgpr10
                                        ; implicit-def: $vgpr11
	s_load_dwordx2 s[0:1], s[0:1], 0x0
	s_load_dwordx2 s[4:5], s[4:5], 0x20
	v_mul_u32_u24_e32 v4, 0x58, v4
	v_sub_nc_u32_e32 v0, v0, v4
	v_mov_b32_e32 v4, 0
	s_waitcnt lgkmcnt(0)
	v_mul_lo_u32 v5, s0, v8
	v_mul_lo_u32 v6, s1, v7
	v_mad_u64_u32 v[2:3], null, s0, v7, v[1:2]
	v_cmp_gt_u64_e32 vcc_lo, s[4:5], v[7:8]
	v_mov_b32_e32 v1, 0
                                        ; implicit-def: $vgpr7
                                        ; implicit-def: $vgpr8
	v_add3_u32 v3, v6, v3, v5
	v_mov_b32_e32 v6, 0
	v_mov_b32_e32 v5, 0
	v_lshlrev_b64 v[2:3], 2, v[2:3]
	s_and_saveexec_b32 s1, vcc_lo
	s_cbranch_execz .LBB0_11
; %bb.10:
	v_mov_b32_e32 v1, 0
	v_lshlrev_b64 v[4:5], 2, v[0:1]
	v_add_co_u32 v1, s0, s2, v2
	v_add_co_ci_u32_e64 v6, s0, s3, v3, s0
	v_add_co_u32 v10, s0, v1, v4
	v_add_co_ci_u32_e64 v11, s0, v6, v5, s0
	;; [unrolled: 2-line block ×3, first 2 shown]
	s_clause 0x7
	global_load_dword v13, v[10:11], off offset:1408
	global_load_dword v12, v[10:11], off offset:1760
	;; [unrolled: 1-line block ×4, first 2 shown]
	global_load_dword v1, v[10:11], off
	global_load_dword v6, v[10:11], off offset:352
	global_load_dword v5, v[10:11], off offset:704
	;; [unrolled: 1-line block ×3, first 2 shown]
	s_waitcnt vmcnt(7)
	v_lshrrev_b32_e32 v15, 16, v13
	s_waitcnt vmcnt(6)
	v_lshrrev_b32_e32 v14, 16, v12
	;; [unrolled: 2-line block ×4, first 2 shown]
.LBB0_11:
	s_or_b32 exec_lo, exec_lo, s1
	v_and_b32_e32 v9, 1, v9
	s_waitcnt vmcnt(3)
	v_sub_f16_e32 v13, v1, v13
	s_waitcnt vmcnt(2)
	v_sub_f16_e32 v18, v6, v12
	v_lshrrev_b32_e32 v16, 16, v1
	v_lshrrev_b32_e32 v17, 16, v6
	v_cmp_eq_u32_e64 s0, 1, v9
	v_fma_f16 v9, v1, 2.0, -v13
	s_waitcnt vmcnt(0)
	v_lshrrev_b32_e32 v20, 16, v4
	v_sub_f16_e32 v22, v4, v8
	v_lshrrev_b32_e32 v19, 16, v5
	v_cndmask_b32_e64 v12, 0, 0x2c0, s0
	v_sub_f16_e32 v7, v5, v7
	v_sub_f16_e32 v15, v16, v15
	;; [unrolled: 1-line block ×3, first 2 shown]
	v_lshl_add_u32 v24, v0, 2, 0
	v_lshlrev_b32_e32 v1, 1, v12
	v_fma_f16 v6, v6, 2.0, -v18
	v_sub_f16_e32 v23, v20, v11
	v_fma_f16 v11, v4, 2.0, -v22
	v_lshlrev_b32_e32 v4, 1, v0
	v_add_nc_u32_e32 v25, 0x58, v0
	v_add_nc_u32_e32 v28, 0, v1
	v_sub_f16_e32 v21, v19, v10
	v_fma_f16 v5, v5, 2.0, -v7
	v_add_nc_u32_e32 v10, 0xb0, v0
	v_add_nc_u32_e32 v8, 0x108, v0
	v_fma_f16 v16, v16, 2.0, -v15
	v_fma_f16 v17, v17, 2.0, -v14
	v_add_nc_u32_e32 v26, v24, v1
	v_pack_b32_f16 v9, v9, v13
	v_lshl_add_u32 v27, v25, 2, v28
	v_pack_b32_f16 v6, v6, v18
	v_sub_nc_u32_e32 v13, v24, v4
	v_fma_f16 v19, v19, 2.0, -v21
	v_lshl_add_u32 v18, v10, 2, v28
	v_pack_b32_f16 v5, v5, v7
	v_lshl_add_u32 v7, v8, 2, v28
	v_pack_b32_f16 v11, v11, v22
	v_fma_f16 v20, v20, 2.0, -v23
	ds_write_b32 v26, v9
	v_add_nc_u32_e32 v9, v28, v4
	v_pack_b32_f16 v15, v16, v15
	v_pack_b32_f16 v14, v17, v14
	v_and_b32_e32 v17, 1, v0
	ds_write_b32 v27, v6
	ds_write_b32 v18, v5
	;; [unrolled: 1-line block ×3, first 2 shown]
	v_add_nc_u32_e32 v11, v13, v1
	v_pack_b32_f16 v16, v19, v21
	s_waitcnt lgkmcnt(0)
	s_barrier
	buffer_gl0_inv
	ds_read_u16 v5, v9
	ds_read_u16 v6, v11 offset:176
	ds_read_u16 v22, v11 offset:352
	;; [unrolled: 1-line block ×7, first 2 shown]
	s_waitcnt lgkmcnt(0)
	s_barrier
	buffer_gl0_inv
	v_pack_b32_f16 v19, v20, v23
	ds_write_b32 v26, v15
	ds_write_b32 v27, v14
	;; [unrolled: 1-line block ×3, first 2 shown]
	v_lshlrev_b32_e32 v14, 2, v17
	v_lshlrev_b32_e32 v15, 1, v25
	;; [unrolled: 1-line block ×3, first 2 shown]
	ds_write_b32 v7, v19
	s_waitcnt lgkmcnt(0)
	s_barrier
	buffer_gl0_inv
	global_load_dword v7, v14, s[8:9]
	ds_read_u16 v18, v11 offset:704
	ds_read_u16 v21, v11 offset:880
	;; [unrolled: 1-line block ×4, first 2 shown]
	ds_read_u16 v34, v9
	ds_read_u16 v35, v11 offset:176
	ds_read_u16 v36, v11 offset:352
	;; [unrolled: 1-line block ×3, first 2 shown]
	v_lshlrev_b32_e32 v19, 1, v8
	v_and_b32_e32 v14, 3, v0
	v_and_or_b32 v20, 0xfc, v4, v17
	v_and_or_b32 v23, 0x1fc, v15, v17
	;; [unrolled: 1-line block ×4, first 2 shown]
	v_lshlrev_b32_e32 v33, 2, v14
	v_lshl_add_u32 v20, v20, 1, v28
	v_lshl_add_u32 v23, v23, 1, v28
	;; [unrolled: 1-line block ×4, first 2 shown]
	s_waitcnt vmcnt(0) lgkmcnt(0)
	s_barrier
	buffer_gl0_inv
	v_cmp_gt_u32_e64 s0, 64, v0
	v_mul_f16_sdwa v39, v31, v7 dst_sel:DWORD dst_unused:UNUSED_PAD src0_sel:DWORD src1_sel:WORD_1
	v_mul_f16_sdwa v38, v18, v7 dst_sel:DWORD dst_unused:UNUSED_PAD src0_sel:DWORD src1_sel:WORD_1
	;; [unrolled: 1-line block ×8, first 2 shown]
	v_fmac_f16_e32 v39, v18, v7
	v_fma_f16 v31, v31, v7, -v38
	v_fma_f16 v18, v24, v7, -v40
	v_fmac_f16_e32 v41, v21, v7
	v_fma_f16 v21, v29, v7, -v42
	v_fmac_f16_e32 v43, v25, v7
	;; [unrolled: 2-line block ×3, first 2 shown]
	v_sub_f16_e32 v25, v34, v39
	v_sub_f16_e32 v7, v5, v31
	;; [unrolled: 1-line block ×8, first 2 shown]
	v_fma_f16 v31, v34, 2.0, -v25
	v_fma_f16 v5, v5, 2.0, -v7
	;; [unrolled: 1-line block ×8, first 2 shown]
	ds_write_b16 v20, v7 offset:4
	ds_write_b16 v20, v5
	ds_write_b16 v23, v6
	ds_write_b16 v23, v18 offset:4
	ds_write_b16 v26, v22
	ds_write_b16 v26, v21 offset:4
	;; [unrolled: 2-line block ×3, first 2 shown]
	s_waitcnt lgkmcnt(0)
	s_barrier
	buffer_gl0_inv
	ds_read_u16 v5, v9
	ds_read_u16 v6, v11 offset:176
	ds_read_u16 v7, v11 offset:352
	;; [unrolled: 1-line block ×7, first 2 shown]
	s_waitcnt lgkmcnt(0)
	s_barrier
	buffer_gl0_inv
	ds_write_b16 v20, v31
	ds_write_b16 v20, v25 offset:4
	ds_write_b16 v23, v34
	ds_write_b16 v23, v27 offset:4
	ds_write_b16 v26, v35
	ds_write_b16 v26, v29 offset:4
	ds_write_b16 v17, v36
	ds_write_b16 v17, v30 offset:4
	s_waitcnt lgkmcnt(0)
	s_barrier
	buffer_gl0_inv
	global_load_dword v17, v33, s[8:9] offset:8
	ds_read_u16 v23, v11 offset:704
	ds_read_u16 v26, v11 offset:880
	;; [unrolled: 1-line block ×4, first 2 shown]
	v_and_or_b32 v27, 0x1f8, v15, v14
	v_and_b32_e32 v20, 7, v0
	v_and_or_b32 v25, 0xf8, v4, v14
	v_and_or_b32 v30, 0x3f8, v16, v14
	;; [unrolled: 1-line block ×3, first 2 shown]
	v_lshl_add_u32 v34, v27, 1, v28
	ds_read_u16 v27, v9
	ds_read_u16 v35, v11 offset:176
	ds_read_u16 v36, v11 offset:352
	;; [unrolled: 1-line block ×3, first 2 shown]
	v_lshlrev_b32_e32 v33, 2, v20
	v_lshl_add_u32 v25, v25, 1, v28
	v_lshl_add_u32 v30, v30, 1, v28
	;; [unrolled: 1-line block ×3, first 2 shown]
	s_waitcnt vmcnt(0) lgkmcnt(0)
	s_barrier
	buffer_gl0_inv
	v_and_or_b32 v15, 0x1f0, v15, v20
	v_and_or_b32 v16, 0x3f0, v16, v20
	;; [unrolled: 1-line block ×3, first 2 shown]
	v_mul_f16_sdwa v39, v24, v17 dst_sel:DWORD dst_unused:UNUSED_PAD src0_sel:DWORD src1_sel:WORD_1
	v_mul_f16_sdwa v38, v23, v17 dst_sel:DWORD dst_unused:UNUSED_PAD src0_sel:DWORD src1_sel:WORD_1
	;; [unrolled: 1-line block ×8, first 2 shown]
	v_fmac_f16_e32 v39, v23, v17
	v_fma_f16 v24, v24, v17, -v38
	v_fma_f16 v18, v18, v17, -v40
	v_fmac_f16_e32 v41, v26, v17
	v_fma_f16 v21, v21, v17, -v42
	v_fmac_f16_e32 v43, v29, v17
	v_fma_f16 v22, v22, v17, -v44
	v_fmac_f16_e32 v45, v31, v17
	v_sub_f16_e32 v23, v27, v39
	v_sub_f16_e32 v17, v5, v24
	v_sub_f16_e32 v18, v6, v18
	v_sub_f16_e32 v24, v35, v41
	v_sub_f16_e32 v21, v7, v21
	v_sub_f16_e32 v26, v36, v43
	v_sub_f16_e32 v22, v32, v22
	v_sub_f16_e32 v29, v37, v45
	v_fma_f16 v31, v27, 2.0, -v23
	v_fma_f16 v5, v5, 2.0, -v17
	;; [unrolled: 1-line block ×8, first 2 shown]
	ds_write_b16 v25, v17 offset:8
	ds_write_b16 v25, v5
	ds_write_b16 v34, v6
	ds_write_b16 v34, v18 offset:8
	ds_write_b16 v30, v7
	ds_write_b16 v30, v21 offset:8
	;; [unrolled: 2-line block ×3, first 2 shown]
	s_waitcnt lgkmcnt(0)
	s_barrier
	buffer_gl0_inv
	ds_read_u16 v21, v9
	ds_read_u16 v41, v11 offset:176
	ds_read_u16 v44, v11 offset:352
	;; [unrolled: 1-line block ×7, first 2 shown]
	s_waitcnt lgkmcnt(0)
	s_barrier
	buffer_gl0_inv
	ds_write_b16 v25, v31
	ds_write_b16 v25, v23 offset:8
	ds_write_b16 v34, v35
	ds_write_b16 v34, v24 offset:8
	;; [unrolled: 2-line block ×4, first 2 shown]
	s_waitcnt lgkmcnt(0)
	s_barrier
	buffer_gl0_inv
	global_load_dword v7, v33, s[8:9] offset:24
	ds_read_u16 v18, v11 offset:704
	ds_read_u16 v22, v11 offset:880
	;; [unrolled: 1-line block ×4, first 2 shown]
	v_and_or_b32 v14, 0xf0, v4, v20
	ds_read_u16 v38, v9
	ds_read_u16 v40, v11 offset:176
	ds_read_u16 v42, v11 offset:352
	;; [unrolled: 1-line block ×3, first 2 shown]
	v_lshl_add_u32 v37, v15, 1, v28
	v_lshl_add_u32 v36, v16, 1, v28
	;; [unrolled: 1-line block ×4, first 2 shown]
	s_waitcnt vmcnt(0) lgkmcnt(0)
	s_barrier
	buffer_gl0_inv
                                        ; implicit-def: $vgpr28
                                        ; implicit-def: $vgpr29
                                        ; implicit-def: $vgpr30
	v_mul_f16_sdwa v14, v18, v7 dst_sel:DWORD dst_unused:UNUSED_PAD src0_sel:DWORD src1_sel:WORD_1
	v_mul_f16_sdwa v15, v22, v7 dst_sel:DWORD dst_unused:UNUSED_PAD src0_sel:DWORD src1_sel:WORD_1
	;; [unrolled: 1-line block ×4, first 2 shown]
	v_fma_f16 v14, v27, v7, -v14
	v_fma_f16 v15, v17, v7, -v15
	;; [unrolled: 1-line block ×4, first 2 shown]
	v_sub_f16_e32 v20, v21, v14
	v_sub_f16_e32 v16, v41, v15
	;; [unrolled: 1-line block ×4, first 2 shown]
	v_fma_f16 v19, v21, 2.0, -v20
	v_fma_f16 v24, v41, 2.0, -v16
	;; [unrolled: 1-line block ×4, first 2 shown]
	ds_write_b16 v39, v20 offset:16
	ds_write_b16 v39, v19
	ds_write_b16 v37, v24
	ds_write_b16 v37, v16 offset:16
	ds_write_b16 v36, v25
	ds_write_b16 v36, v15 offset:16
	ds_write_b16 v31, v21
	ds_write_b16 v31, v14 offset:16
	s_waitcnt lgkmcnt(0)
	s_barrier
	buffer_gl0_inv
	s_and_saveexec_b32 s1, s0
	s_cbranch_execz .LBB0_13
; %bb.12:
	v_add3_u32 v28, 0, v4, v1
	ds_read_u16 v19, v9
	ds_read_u16 v20, v28 offset:128
	ds_read_u16 v24, v28 offset:256
	ds_read_u16 v16, v28 offset:384
	ds_read_u16 v25, v28 offset:512
	ds_read_u16 v15, v28 offset:640
	ds_read_u16 v21, v28 offset:768
	ds_read_u16 v14, v28 offset:896
	ds_read_u16 v30, v28 offset:1024
	ds_read_u16 v29, v28 offset:1152
	ds_read_u16 v28, v28 offset:1280
.LBB0_13:
	s_or_b32 exec_lo, exec_lo, s1
	v_mul_f16_sdwa v27, v27, v7 dst_sel:DWORD dst_unused:UNUSED_PAD src0_sel:DWORD src1_sel:WORD_1
	v_mul_f16_sdwa v17, v17, v7 dst_sel:DWORD dst_unused:UNUSED_PAD src0_sel:DWORD src1_sel:WORD_1
	;; [unrolled: 1-line block ×4, first 2 shown]
	s_waitcnt lgkmcnt(0)
	v_fmac_f16_e32 v27, v18, v7
	v_fmac_f16_e32 v17, v22, v7
	;; [unrolled: 1-line block ×4, first 2 shown]
	s_barrier
	v_sub_f16_e32 v35, v38, v27
	v_sub_f16_e32 v34, v40, v17
	;; [unrolled: 1-line block ×4, first 2 shown]
	buffer_gl0_inv
	v_fma_f16 v5, v38, 2.0, -v35
	v_fma_f16 v41, v40, 2.0, -v34
	;; [unrolled: 1-line block ×4, first 2 shown]
	ds_write_b16 v39, v35 offset:16
	ds_write_b16 v39, v5
	ds_write_b16 v37, v41
	ds_write_b16 v37, v34 offset:16
	ds_write_b16 v36, v40
	ds_write_b16 v36, v33 offset:16
	;; [unrolled: 2-line block ×3, first 2 shown]
	s_waitcnt lgkmcnt(0)
	s_barrier
	buffer_gl0_inv
                                        ; implicit-def: $vgpr42
                                        ; implicit-def: $vgpr43
                                        ; implicit-def: $vgpr44
	s_and_saveexec_b32 s1, s0
	s_cbranch_execz .LBB0_15
; %bb.14:
	v_add3_u32 v4, 0, v4, v1
	ds_read_u16 v5, v9
	ds_read_u16 v35, v4 offset:128
	ds_read_u16 v41, v4 offset:256
	;; [unrolled: 1-line block ×10, first 2 shown]
.LBB0_15:
	s_or_b32 exec_lo, exec_lo, s1
	v_and_b32_e32 v4, 15, v0
	v_mul_u32_u24_e32 v6, 10, v4
	v_lshlrev_b32_e32 v6, 2, v6
	s_clause 0x2
	global_load_dwordx4 v[45:48], v6, s[8:9] offset:56
	global_load_dwordx4 v[49:52], v6, s[8:9] offset:72
	global_load_dwordx2 v[53:54], v6, s[8:9] offset:88
	s_waitcnt vmcnt(0) lgkmcnt(0)
	s_barrier
	buffer_gl0_inv
	v_mul_f16_sdwa v36, v35, v45 dst_sel:DWORD dst_unused:UNUSED_PAD src0_sel:DWORD src1_sel:WORD_1
	v_mul_f16_sdwa v37, v20, v45 dst_sel:DWORD dst_unused:UNUSED_PAD src0_sel:DWORD src1_sel:WORD_1
	;; [unrolled: 1-line block ×20, first 2 shown]
	v_fma_f16 v39, v20, v45, -v36
	v_fmac_f16_e32 v37, v35, v45
	v_fma_f16 v36, v24, v46, -v55
	v_fmac_f16_e32 v31, v41, v46
	;; [unrolled: 2-line block ×10, first 2 shown]
	v_lshrrev_b32_e32 v14, 4, v0
	s_and_saveexec_b32 s1, s0
	s_cbranch_execz .LBB0_17
; %bb.16:
	v_sub_f16_e32 v30, v37, v27
	v_add_f16_e32 v29, v39, v40
	v_sub_f16_e32 v33, v31, v26
	v_add_f16_e32 v32, v36, v38
	v_sub_f16_e32 v35, v22, v23
	v_mul_f16_e32 v45, 0xb482, v30
	v_add_f16_e32 v34, v24, v25
	v_mul_f16_e32 v46, 0x3853, v33
	v_sub_f16_e32 v42, v17, v18
	v_mul_f16_e32 v47, 0xba0c, v35
	v_fmamk_f16 v50, v29, 0xbbad, v45
	v_fma_f16 v45, v29, 0xbbad, -v45
	v_fmamk_f16 v53, v32, 0x3abb, v46
	v_fma_f16 v46, v32, 0x3abb, -v46
	v_add_f16_e32 v41, v20, v21
	v_add_f16_e32 v50, v19, v50
	;; [unrolled: 1-line block ×3, first 2 shown]
	v_sub_f16_e32 v44, v6, v7
	v_mul_f16_e32 v48, 0x3b47, v42
	v_fmamk_f16 v54, v34, 0xb93d, v47
	v_add_f16_e32 v50, v53, v50
	v_fma_f16 v47, v34, 0xb93d, -v47
	v_add_f16_e32 v45, v46, v45
	v_add_f16_e32 v43, v15, v16
	v_mul_f16_e32 v49, 0xbbeb, v44
	v_mul_f16_e32 v51, 0xba0c, v30
	v_fmamk_f16 v55, v41, 0x36a6, v48
	v_add_f16_e32 v50, v54, v50
	v_fma_f16 v48, v41, 0x36a6, -v48
	v_add_f16_e32 v45, v47, v45
	v_mul_f16_e32 v52, 0x3beb, v33
	v_fmamk_f16 v53, v43, 0xb08e, v49
	v_fmamk_f16 v54, v29, 0xb93d, v51
	v_add_f16_e32 v46, v55, v50
	v_add_f16_e32 v45, v48, v45
	v_fma_f16 v48, v43, 0xb08e, -v49
	v_fma_f16 v49, v29, 0xb93d, -v51
	v_add_f16_e32 v50, v19, v54
	v_add_f16_e32 v46, v53, v46
	v_fmamk_f16 v47, v32, 0xb08e, v52
	v_mul_f16_e32 v53, 0xb853, v35
	v_add_f16_e32 v45, v48, v45
	v_add_f16_e32 v48, v19, v49
	v_fma_f16 v49, v32, 0xb08e, -v52
	v_add_f16_e32 v47, v47, v50
	v_fmamk_f16 v50, v34, 0x3abb, v53
	v_mul_f16_e32 v51, 0xb482, v42
	v_mul_f16_e32 v52, 0x3b47, v44
	v_add_f16_e32 v48, v49, v48
	v_fma_f16 v49, v34, 0x3abb, -v53
	v_add_f16_e32 v47, v50, v47
	v_fmamk_f16 v50, v41, 0xbbad, v51
	v_mul_f16_e32 v54, 0xbbeb, v30
	v_mul_f16_e32 v55, 0x3482, v33
	v_add_f16_e32 v48, v49, v48
	v_fma_f16 v49, v41, 0xbbad, -v51
	v_add_f16_e32 v47, v50, v47
	v_fmamk_f16 v50, v43, 0x36a6, v52
	v_fmamk_f16 v53, v29, 0xb08e, v54
	;; [unrolled: 1-line block ×3, first 2 shown]
	v_add_f16_e32 v48, v49, v48
	v_fma_f16 v49, v43, 0x36a6, -v52
	v_fma_f16 v52, v29, 0xb08e, -v54
	v_add_f16_e32 v47, v50, v47
	v_add_f16_e32 v50, v19, v53
	v_mul_f16_e32 v53, 0x3b47, v35
	v_add_f16_e32 v48, v49, v48
	v_add_f16_e32 v49, v19, v52
	v_fma_f16 v52, v32, 0xbbad, -v55
	v_add_f16_e32 v28, v19, v39
	v_add_f16_e32 v50, v51, v50
	v_fmamk_f16 v51, v34, 0x36a6, v53
	v_mul_f16_e32 v54, 0xb853, v42
	v_add_f16_e32 v49, v52, v49
	v_fma_f16 v52, v34, 0x36a6, -v53
	v_add_f16_e32 v28, v28, v36
	v_add_f16_e32 v50, v51, v50
	v_fmamk_f16 v51, v41, 0x3abb, v54
	v_mul_f16_e32 v55, 0xba0c, v44
	v_mul_f16_e32 v56, 0xbb47, v30
	v_add_f16_e32 v49, v52, v49
	v_fma_f16 v52, v41, 0x3abb, -v54
	v_add_f16_e32 v28, v28, v24
	v_add_f16_e32 v50, v51, v50
	v_fmamk_f16 v51, v43, 0xb93d, v55
	v_mul_f16_e32 v57, 0xba0c, v33
	v_add_f16_e32 v49, v52, v49
	v_fma_f16 v52, v43, 0xb93d, -v55
	v_fma_f16 v55, v29, 0x36a6, -v56
	v_add_f16_e32 v28, v28, v20
	v_mul_f16_e32 v30, 0xb853, v30
	v_mul_f16_e32 v33, 0xbb47, v33
	v_add_f16_e32 v49, v52, v49
	v_add_f16_e32 v52, v19, v55
	v_fma_f16 v55, v32, 0xb93d, -v57
	v_add_f16_e32 v28, v28, v15
	v_fmamk_f16 v53, v29, 0x36a6, v56
	v_mul_f16_e32 v54, 0x3482, v35
	v_mul_f16_e32 v35, 0xbbeb, v35
	v_add_f16_e32 v52, v55, v52
	v_fma_f16 v55, v29, 0x3abb, -v30
	v_add_f16_e32 v28, v28, v16
	v_fmamk_f16 v29, v29, 0x3abb, v30
	v_add_f16_e32 v50, v51, v50
	v_add_f16_e32 v51, v19, v53
	;; [unrolled: 1-line block ×3, first 2 shown]
	v_fma_f16 v55, v32, 0x36a6, -v33
	v_fmamk_f16 v53, v32, 0xb93d, v57
	v_add_f16_e32 v28, v28, v21
	v_mul_f16_e32 v56, 0x3beb, v42
	v_add_f16_e32 v19, v19, v29
	v_fmamk_f16 v29, v32, 0x36a6, v33
	v_add_f16_e32 v30, v55, v30
	v_fma_f16 v32, v34, 0xb08e, -v35
	v_mul_f16_e32 v33, 0xba0c, v42
	v_mul_u32_u24_e32 v42, 0xb0, v14
	v_add_f16_e32 v51, v53, v51
	v_fmamk_f16 v53, v34, 0xbbad, v54
	v_fma_f16 v54, v34, 0xbbad, -v54
	v_add_f16_e32 v28, v28, v25
	v_add_f16_e32 v19, v29, v19
	v_fmamk_f16 v29, v34, 0xb08e, v35
	v_add_f16_e32 v30, v32, v30
	v_fma_f16 v32, v41, 0xb93d, -v33
	v_or_b32_e32 v34, v42, v4
	v_mul_f16_e32 v35, 0xb482, v44
	v_mul_f16_e32 v57, 0x3853, v44
	v_add_f16_e32 v52, v54, v52
	v_fma_f16 v54, v41, 0xb08e, -v56
	v_add_f16_e32 v28, v28, v38
	v_add_f16_e32 v51, v53, v51
	v_fmamk_f16 v53, v41, 0xb08e, v56
	v_add_f16_e32 v19, v29, v19
	v_fmamk_f16 v29, v41, 0xb93d, v33
	v_add_f16_e32 v30, v32, v30
	v_lshlrev_b32_e32 v32, 1, v34
	v_fma_f16 v33, v43, 0xbbad, -v35
	v_add_f16_e32 v52, v54, v52
	v_fma_f16 v34, v43, 0x3abb, -v57
	v_add_f16_e32 v28, v28, v40
	v_add_f16_e32 v51, v53, v51
	v_fmamk_f16 v53, v43, 0x3abb, v57
	v_add_f16_e32 v19, v29, v19
	v_fmamk_f16 v29, v43, 0xbbad, v35
	v_add3_u32 v32, 0, v32, v1
	v_add_f16_e32 v30, v33, v30
	v_add_f16_e32 v33, v34, v52
	;; [unrolled: 1-line block ×4, first 2 shown]
	ds_write_b16 v32, v28
	ds_write_b16 v32, v30 offset:32
	ds_write_b16 v32, v33 offset:64
	;; [unrolled: 1-line block ×10, first 2 shown]
.LBB0_17:
	s_or_b32 exec_lo, exec_lo, s1
	s_waitcnt lgkmcnt(0)
	s_barrier
	buffer_gl0_inv
	ds_read_u16 v19, v9
	ds_read_u16 v28, v11 offset:176
	ds_read_u16 v29, v11 offset:352
	;; [unrolled: 1-line block ×7, first 2 shown]
	s_waitcnt lgkmcnt(0)
	s_barrier
	buffer_gl0_inv
	s_and_saveexec_b32 s1, s0
	s_cbranch_execz .LBB0_19
; %bb.18:
	v_add_f16_e32 v41, v5, v37
	v_sub_f16_e32 v39, v39, v40
	v_add_f16_e32 v40, v31, v26
	v_add_f16_e32 v37, v37, v27
	v_sub_f16_e32 v36, v36, v38
	v_add_f16_e32 v31, v41, v31
	v_mul_f16_e32 v38, 0xb853, v39
	v_mul_f16_e32 v41, 0xbb47, v39
	;; [unrolled: 1-line block ×4, first 2 shown]
	v_add_f16_e32 v31, v31, v22
	v_mul_f16_e32 v39, 0xb482, v39
	v_mul_f16_e32 v44, 0xbb47, v36
	v_fmamk_f16 v47, v37, 0x3abb, v38
	v_fma_f16 v38, v37, 0x3abb, -v38
	v_add_f16_e32 v31, v31, v17
	v_mul_f16_e32 v45, 0xba0c, v36
	v_fmamk_f16 v48, v37, 0x36a6, v41
	v_fma_f16 v41, v37, 0x36a6, -v41
	v_fmamk_f16 v49, v37, 0xb08e, v42
	v_add_f16_e32 v31, v31, v6
	v_fma_f16 v42, v37, 0xb08e, -v42
	v_fmamk_f16 v50, v37, 0xb93d, v43
	v_fma_f16 v43, v37, 0xb93d, -v43
	v_fmamk_f16 v51, v37, 0xbbad, v39
	v_add_f16_e32 v31, v31, v7
	v_fma_f16 v37, v37, 0xbbad, -v39
	v_fmamk_f16 v39, v40, 0x36a6, v44
	v_fma_f16 v44, v40, 0x36a6, -v44
	v_add_f16_e32 v47, v5, v47
	v_add_f16_e32 v31, v31, v18
	;; [unrolled: 1-line block ×9, first 2 shown]
	v_mul_f16_e32 v46, 0x3482, v36
	v_sub_f16_e32 v24, v24, v25
	v_add_f16_e32 v26, v31, v26
	v_add_f16_e32 v31, v5, v43
	v_add_f16_e32 v43, v5, v51
	v_add_f16_e32 v5, v5, v37
	v_add_f16_e32 v37, v39, v47
	v_add_f16_e32 v26, v26, v27
	v_add_f16_e32 v27, v44, v38
	v_fma_f16 v38, v40, 0xb93d, -v45
	v_mul_f16_e32 v39, 0x3beb, v36
	v_mul_f16_e32 v36, 0x3853, v36
	v_fmamk_f16 v52, v40, 0xb93d, v45
	v_fmamk_f16 v44, v40, 0xbbad, v46
	v_add_f16_e32 v38, v38, v41
	v_fmamk_f16 v41, v40, 0xb08e, v39
	v_fma_f16 v46, v40, 0xbbad, -v46
	v_fma_f16 v39, v40, 0xb08e, -v39
	v_add_f16_e32 v22, v22, v23
	v_mul_f16_e32 v23, 0xbbeb, v24
	v_add_f16_e32 v25, v41, v50
	v_fmamk_f16 v41, v40, 0x3abb, v36
	v_fma_f16 v36, v40, 0x3abb, -v36
	v_mul_f16_e32 v40, 0x3482, v24
	v_add_f16_e32 v31, v39, v31
	v_add_f16_e32 v42, v46, v42
	;; [unrolled: 1-line block ×3, first 2 shown]
	v_fmamk_f16 v41, v22, 0xb08e, v23
	v_add_f16_e32 v5, v36, v5
	v_fma_f16 v23, v22, 0xb08e, -v23
	v_mul_f16_e32 v36, 0x3b47, v24
	v_fmamk_f16 v43, v22, 0xbbad, v40
	v_fma_f16 v40, v22, 0xbbad, -v40
	v_sub_f16_e32 v20, v20, v21
	v_add_f16_e32 v23, v23, v27
	v_fmamk_f16 v27, v22, 0x36a6, v36
	v_fma_f16 v36, v22, 0x36a6, -v36
	v_add_f16_e32 v38, v40, v38
	v_mul_f16_e32 v40, 0xb853, v24
	v_mul_f16_e32 v24, 0xba0c, v24
	v_add_f16_e32 v17, v17, v18
	v_add_f16_e32 v36, v36, v42
	v_mul_f16_e32 v18, 0xba0c, v20
	v_fmamk_f16 v21, v22, 0x3abb, v40
	v_fma_f16 v40, v22, 0x3abb, -v40
	v_fmamk_f16 v42, v22, 0xb93d, v24
	v_fma_f16 v22, v22, 0xb93d, -v24
	v_add_f16_e32 v37, v41, v37
	v_add_f16_e32 v21, v21, v25
	;; [unrolled: 1-line block ×4, first 2 shown]
	v_fmamk_f16 v31, v17, 0xb93d, v18
	v_mul_f16_e32 v39, 0x3beb, v20
	v_fma_f16 v18, v17, 0xb93d, -v18
	v_add_f16_e32 v5, v22, v5
	v_mul_f16_e32 v22, 0xb853, v20
	v_add_f16_e32 v31, v31, v37
	v_fmamk_f16 v37, v17, 0xb08e, v39
	v_add_f16_e32 v18, v18, v23
	v_fma_f16 v23, v17, 0xb08e, -v39
	v_fmamk_f16 v39, v17, 0x3abb, v22
	v_fma_f16 v22, v17, 0x3abb, -v22
	v_mul_f16_e32 v40, 0xb482, v20
	v_sub_f16_e32 v15, v15, v16
	v_add_f16_e32 v45, v52, v48
	v_mul_f16_e32 v20, 0x3b47, v20
	v_add_f16_e32 v22, v22, v36
	v_fmamk_f16 v16, v17, 0xbbad, v40
	v_fma_f16 v36, v17, 0xbbad, -v40
	v_add_f16_e32 v6, v6, v7
	v_mul_f16_e32 v7, 0xb482, v15
	v_add_f16_e32 v41, v43, v45
	v_add_f16_e32 v16, v16, v21
	v_fmamk_f16 v21, v17, 0x36a6, v20
	v_fma_f16 v17, v17, 0x36a6, -v20
	v_add_f16_e32 v20, v36, v25
	v_fmamk_f16 v25, v6, 0xbbad, v7
	v_mul_f16_e32 v36, 0x3853, v15
	v_add_f16_e32 v44, v44, v49
	v_mul_u32_u24_e32 v14, 0xb0, v14
	v_add_f16_e32 v37, v37, v41
	v_add_f16_e32 v21, v21, v24
	;; [unrolled: 1-line block ×3, first 2 shown]
	v_fma_f16 v7, v6, 0xbbad, -v7
	v_add_f16_e32 v17, v25, v31
	v_fmamk_f16 v24, v6, 0x3abb, v36
	v_mul_f16_e32 v25, 0xba0c, v15
	v_add_f16_e32 v27, v27, v44
	v_or_b32_e32 v4, v14, v4
	v_add_f16_e32 v7, v7, v18
	v_add_f16_e32 v18, v24, v37
	v_fmamk_f16 v24, v6, 0xb93d, v25
	v_fma_f16 v25, v6, 0xb93d, -v25
	v_mul_f16_e32 v14, 0x3b47, v15
	v_add_f16_e32 v27, v39, v27
	v_mul_f16_e32 v15, 0xbbeb, v15
	v_lshlrev_b32_e32 v4, 1, v4
	v_add_f16_e32 v22, v25, v22
	v_fmamk_f16 v25, v6, 0x36a6, v14
	v_add_f16_e32 v23, v23, v38
	v_fma_f16 v31, v6, 0x3abb, -v36
	v_add_f16_e32 v24, v24, v27
	v_fma_f16 v14, v6, 0x36a6, -v14
	v_fmamk_f16 v27, v6, 0xb08e, v15
	v_fma_f16 v6, v6, 0xb08e, -v15
	v_add3_u32 v1, 0, v4, v1
	v_add_f16_e32 v4, v25, v16
	v_add_f16_e32 v23, v31, v23
	;; [unrolled: 1-line block ×5, first 2 shown]
	ds_write_b16 v1, v26
	ds_write_b16 v1, v17 offset:32
	ds_write_b16 v1, v18 offset:64
	;; [unrolled: 1-line block ×10, first 2 shown]
.LBB0_19:
	s_or_b32 exec_lo, exec_lo, s1
	v_mov_b32_e32 v1, 0
	s_waitcnt lgkmcnt(0)
	s_barrier
	buffer_gl0_inv
	v_lshl_add_u32 v20, v12, 1, v13
	v_lshlrev_b64 v[4:5], 2, v[0:1]
	v_add_co_u32 v6, s0, s8, v4
	v_add_co_ci_u32_e64 v7, s0, s9, v5, s0
	s_clause 0x1
	global_load_dword v0, v[6:7], off offset:696
	global_load_dword v14, v[6:7], off offset:1048
	ds_read_u16 v15, v11 offset:704
	ds_read_u16 v16, v11 offset:880
	ds_read_u16 v17, v11 offset:1056
	ds_read_u16 v18, v11 offset:1232
	ds_read_u16 v21, v9
	ds_read_u16 v22, v11 offset:176
	ds_read_u16 v23, v11 offset:352
	;; [unrolled: 1-line block ×3, first 2 shown]
	s_waitcnt vmcnt(0) lgkmcnt(0)
	s_barrier
	buffer_gl0_inv
	v_mul_f16_sdwa v12, v15, v0 dst_sel:DWORD dst_unused:UNUSED_PAD src0_sel:DWORD src1_sel:WORD_1
	v_mul_f16_sdwa v13, v35, v0 dst_sel:DWORD dst_unused:UNUSED_PAD src0_sel:DWORD src1_sel:WORD_1
	;; [unrolled: 1-line block ×8, first 2 shown]
	v_fma_f16 v12, v35, v0, -v12
	v_fmac_f16_e32 v13, v15, v0
	v_fma_f16 v15, v34, v14, -v25
	v_fmac_f16_e32 v26, v16, v14
	;; [unrolled: 2-line block ×4, first 2 shown]
	v_sub_f16_e32 v12, v19, v12
	v_sub_f16_e32 v25, v21, v13
	;; [unrolled: 1-line block ×5, first 2 shown]
	v_fma_f16 v15, v19, 2.0, -v12
	v_sub_f16_e32 v26, v22, v26
	v_fma_f16 v16, v28, 2.0, -v13
	v_fma_f16 v17, v29, 2.0, -v14
	;; [unrolled: 1-line block ×3, first 2 shown]
	ds_write_b16 v11, v12 offset:352
	ds_write_b16 v20, v13 offset:528
	;; [unrolled: 1-line block ×4, first 2 shown]
	ds_write_b16 v11, v15
	ds_write_b16 v11, v16 offset:176
	ds_write_b16 v11, v17 offset:704
	;; [unrolled: 1-line block ×3, first 2 shown]
	s_waitcnt lgkmcnt(0)
	s_barrier
	buffer_gl0_inv
	ds_read_u16 v12, v9
	ds_read_u16 v13, v11 offset:176
	ds_read_u16 v14, v11 offset:352
	ds_read_u16 v16, v11 offset:880
	ds_read_u16 v18, v11 offset:1056
	ds_read_u16 v19, v11 offset:1232
	ds_read_u16 v17, v11 offset:704
	ds_read_u16 v15, v11 offset:528
	v_sub_f16_e32 v27, v23, v31
	v_sub_f16_e32 v31, v24, v37
	v_fma_f16 v0, v21, 2.0, -v25
	v_fma_f16 v21, v22, 2.0, -v26
	s_waitcnt lgkmcnt(0)
	v_fma_f16 v22, v23, 2.0, -v27
	v_fma_f16 v23, v24, 2.0, -v31
	s_barrier
	buffer_gl0_inv
	ds_write_b16 v11, v0
	ds_write_b16 v11, v25 offset:352
	ds_write_b16 v11, v21 offset:176
	;; [unrolled: 1-line block ×7, first 2 shown]
	s_waitcnt lgkmcnt(0)
	s_barrier
	buffer_gl0_inv
	s_and_saveexec_b32 s0, vcc_lo
	s_cbranch_execz .LBB0_21
; %bb.20:
	v_add_co_u32 v20, vcc_lo, 0x800, v6
	v_add_co_ci_u32_e32 v21, vcc_lo, 0, v7, vcc_lo
	v_mul_hi_u32 v0, 0xba2e8ba3, v10
	s_clause 0x3
	global_load_dword v22, v[20:21], off offset:408
	global_load_dword v20, v[20:21], off offset:56
	global_load_dword v21, v[6:7], off offset:1752
	global_load_dword v23, v[6:7], off offset:1400
	ds_read_u16 v10, v11 offset:1232
	ds_read_u16 v24, v11 offset:1056
	;; [unrolled: 1-line block ×4, first 2 shown]
	v_mul_hi_u32 v6, 0xba2e8ba3, v8
	ds_read_u16 v27, v11 offset:528
	ds_read_u16 v28, v11 offset:352
	ds_read_u16 v11, v11 offset:176
	ds_read_u16 v29, v9
	v_add_co_u32 v7, vcc_lo, s2, v2
	v_lshrrev_b32_e32 v0, 8, v0
	v_add_co_ci_u32_e32 v8, vcc_lo, s3, v3, vcc_lo
	v_add_co_u32 v4, vcc_lo, v7, v4
	v_lshrrev_b32_e32 v6, 8, v6
	v_mul_u32_u24_e32 v0, 0x160, v0
	v_add_co_ci_u32_e32 v5, vcc_lo, v8, v5, vcc_lo
	v_lshlrev_b64 v[2:3], 2, v[0:1]
	v_mul_u32_u24_e32 v0, 0x160, v6
	v_lshlrev_b64 v[0:1], 2, v[0:1]
	v_add_co_u32 v2, vcc_lo, v4, v2
	v_add_co_ci_u32_e32 v3, vcc_lo, v5, v3, vcc_lo
	v_add_co_u32 v0, vcc_lo, v4, v0
	v_add_co_ci_u32_e32 v1, vcc_lo, v5, v1, vcc_lo
	;; [unrolled: 2-line block ×4, first 2 shown]
	s_waitcnt vmcnt(3)
	v_mul_f16_sdwa v31, v19, v22 dst_sel:DWORD dst_unused:UNUSED_PAD src0_sel:DWORD src1_sel:WORD_1
	s_waitcnt vmcnt(2) lgkmcnt(6)
	v_mul_f16_sdwa v32, v24, v20 dst_sel:DWORD dst_unused:UNUSED_PAD src0_sel:DWORD src1_sel:WORD_1
	s_waitcnt vmcnt(1) lgkmcnt(5)
	;; [unrolled: 2-line block ×3, first 2 shown]
	v_mul_f16_sdwa v36, v26, v23 dst_sel:DWORD dst_unused:UNUSED_PAD src0_sel:DWORD src1_sel:WORD_1
	v_mul_f16_sdwa v37, v17, v23 dst_sel:DWORD dst_unused:UNUSED_PAD src0_sel:DWORD src1_sel:WORD_1
	;; [unrolled: 1-line block ×5, first 2 shown]
	v_fma_f16 v17, v17, v23, -v36
	v_fmac_f16_e32 v37, v23, v26
	v_fma_f16 v16, v16, v21, -v34
	v_fmac_f16_e32 v35, v21, v25
	v_fmac_f16_e32 v31, v22, v10
	v_fma_f16 v10, v18, v20, -v32
	v_fmac_f16_e32 v33, v20, v24
	v_fma_f16 v19, v19, v22, -v30
	v_sub_f16_e32 v17, v12, v17
	s_waitcnt lgkmcnt(0)
	v_sub_f16_e32 v22, v29, v37
	v_sub_f16_e32 v16, v13, v16
	;; [unrolled: 1-line block ×7, first 2 shown]
	v_fma_f16 v12, v12, 2.0, -v17
	v_fma_f16 v25, v29, 2.0, -v22
	;; [unrolled: 1-line block ×8, first 2 shown]
	v_pack_b32_f16 v17, v17, v22
	v_pack_b32_f16 v16, v16, v21
	;; [unrolled: 1-line block ×8, first 2 shown]
	global_store_dword v[4:5], v17, off offset:1408
	global_store_dword v[4:5], v16, off offset:1760
	;; [unrolled: 1-line block ×3, first 2 shown]
	global_store_dword v[4:5], v12, off
	global_store_dword v[4:5], v11, off offset:352
	global_store_dword v[2:3], v13, off offset:704
	;; [unrolled: 1-line block ×4, first 2 shown]
.LBB0_21:
	s_endpgm
	.section	.rodata,"a",@progbits
	.p2align	6, 0x0
	.amdhsa_kernel fft_rtc_fwd_len704_factors_2_2_2_2_11_2_2_wgs_176_tpt_88_halfLds_half_ip_CI_unitstride_sbrr_dirReg
		.amdhsa_group_segment_fixed_size 0
		.amdhsa_private_segment_fixed_size 0
		.amdhsa_kernarg_size 88
		.amdhsa_user_sgpr_count 6
		.amdhsa_user_sgpr_private_segment_buffer 1
		.amdhsa_user_sgpr_dispatch_ptr 0
		.amdhsa_user_sgpr_queue_ptr 0
		.amdhsa_user_sgpr_kernarg_segment_ptr 1
		.amdhsa_user_sgpr_dispatch_id 0
		.amdhsa_user_sgpr_flat_scratch_init 0
		.amdhsa_user_sgpr_private_segment_size 0
		.amdhsa_wavefront_size32 1
		.amdhsa_uses_dynamic_stack 0
		.amdhsa_system_sgpr_private_segment_wavefront_offset 0
		.amdhsa_system_sgpr_workgroup_id_x 1
		.amdhsa_system_sgpr_workgroup_id_y 0
		.amdhsa_system_sgpr_workgroup_id_z 0
		.amdhsa_system_sgpr_workgroup_info 0
		.amdhsa_system_vgpr_workitem_id 0
		.amdhsa_next_free_vgpr 64
		.amdhsa_next_free_sgpr 21
		.amdhsa_reserve_vcc 1
		.amdhsa_reserve_flat_scratch 0
		.amdhsa_float_round_mode_32 0
		.amdhsa_float_round_mode_16_64 0
		.amdhsa_float_denorm_mode_32 3
		.amdhsa_float_denorm_mode_16_64 3
		.amdhsa_dx10_clamp 1
		.amdhsa_ieee_mode 1
		.amdhsa_fp16_overflow 0
		.amdhsa_workgroup_processor_mode 1
		.amdhsa_memory_ordered 1
		.amdhsa_forward_progress 0
		.amdhsa_shared_vgpr_count 0
		.amdhsa_exception_fp_ieee_invalid_op 0
		.amdhsa_exception_fp_denorm_src 0
		.amdhsa_exception_fp_ieee_div_zero 0
		.amdhsa_exception_fp_ieee_overflow 0
		.amdhsa_exception_fp_ieee_underflow 0
		.amdhsa_exception_fp_ieee_inexact 0
		.amdhsa_exception_int_div_zero 0
	.end_amdhsa_kernel
	.text
.Lfunc_end0:
	.size	fft_rtc_fwd_len704_factors_2_2_2_2_11_2_2_wgs_176_tpt_88_halfLds_half_ip_CI_unitstride_sbrr_dirReg, .Lfunc_end0-fft_rtc_fwd_len704_factors_2_2_2_2_11_2_2_wgs_176_tpt_88_halfLds_half_ip_CI_unitstride_sbrr_dirReg
                                        ; -- End function
	.section	.AMDGPU.csdata,"",@progbits
; Kernel info:
; codeLenInByte = 7724
; NumSgprs: 23
; NumVgprs: 64
; ScratchSize: 0
; MemoryBound: 0
; FloatMode: 240
; IeeeMode: 1
; LDSByteSize: 0 bytes/workgroup (compile time only)
; SGPRBlocks: 2
; VGPRBlocks: 7
; NumSGPRsForWavesPerEU: 23
; NumVGPRsForWavesPerEU: 64
; Occupancy: 15
; WaveLimiterHint : 1
; COMPUTE_PGM_RSRC2:SCRATCH_EN: 0
; COMPUTE_PGM_RSRC2:USER_SGPR: 6
; COMPUTE_PGM_RSRC2:TRAP_HANDLER: 0
; COMPUTE_PGM_RSRC2:TGID_X_EN: 1
; COMPUTE_PGM_RSRC2:TGID_Y_EN: 0
; COMPUTE_PGM_RSRC2:TGID_Z_EN: 0
; COMPUTE_PGM_RSRC2:TIDIG_COMP_CNT: 0
	.text
	.p2alignl 6, 3214868480
	.fill 48, 4, 3214868480
	.type	__hip_cuid_2e1c70b9bced4c46,@object ; @__hip_cuid_2e1c70b9bced4c46
	.section	.bss,"aw",@nobits
	.globl	__hip_cuid_2e1c70b9bced4c46
__hip_cuid_2e1c70b9bced4c46:
	.byte	0                               ; 0x0
	.size	__hip_cuid_2e1c70b9bced4c46, 1

	.ident	"AMD clang version 19.0.0git (https://github.com/RadeonOpenCompute/llvm-project roc-6.4.0 25133 c7fe45cf4b819c5991fe208aaa96edf142730f1d)"
	.section	".note.GNU-stack","",@progbits
	.addrsig
	.addrsig_sym __hip_cuid_2e1c70b9bced4c46
	.amdgpu_metadata
---
amdhsa.kernels:
  - .args:
      - .actual_access:  read_only
        .address_space:  global
        .offset:         0
        .size:           8
        .value_kind:     global_buffer
      - .offset:         8
        .size:           8
        .value_kind:     by_value
      - .actual_access:  read_only
        .address_space:  global
        .offset:         16
        .size:           8
        .value_kind:     global_buffer
      - .actual_access:  read_only
        .address_space:  global
        .offset:         24
        .size:           8
        .value_kind:     global_buffer
      - .offset:         32
        .size:           8
        .value_kind:     by_value
      - .actual_access:  read_only
        .address_space:  global
        .offset:         40
        .size:           8
        .value_kind:     global_buffer
      - .actual_access:  read_only
        .address_space:  global
        .offset:         48
        .size:           8
        .value_kind:     global_buffer
      - .offset:         56
        .size:           4
        .value_kind:     by_value
      - .actual_access:  read_only
        .address_space:  global
        .offset:         64
        .size:           8
        .value_kind:     global_buffer
      - .actual_access:  read_only
        .address_space:  global
        .offset:         72
        .size:           8
        .value_kind:     global_buffer
      - .address_space:  global
        .offset:         80
        .size:           8
        .value_kind:     global_buffer
    .group_segment_fixed_size: 0
    .kernarg_segment_align: 8
    .kernarg_segment_size: 88
    .language:       OpenCL C
    .language_version:
      - 2
      - 0
    .max_flat_workgroup_size: 176
    .name:           fft_rtc_fwd_len704_factors_2_2_2_2_11_2_2_wgs_176_tpt_88_halfLds_half_ip_CI_unitstride_sbrr_dirReg
    .private_segment_fixed_size: 0
    .sgpr_count:     23
    .sgpr_spill_count: 0
    .symbol:         fft_rtc_fwd_len704_factors_2_2_2_2_11_2_2_wgs_176_tpt_88_halfLds_half_ip_CI_unitstride_sbrr_dirReg.kd
    .uniform_work_group_size: 1
    .uses_dynamic_stack: false
    .vgpr_count:     64
    .vgpr_spill_count: 0
    .wavefront_size: 32
    .workgroup_processor_mode: 1
amdhsa.target:   amdgcn-amd-amdhsa--gfx1030
amdhsa.version:
  - 1
  - 2
...

	.end_amdgpu_metadata
